;; amdgpu-corpus repo=zjin-lcf/HeCBench kind=compiled arch=gfx906 opt=O3
	.amdgcn_target "amdgcn-amd-amdhsa--gfx906"
	.amdhsa_code_object_version 6
	.text
	.protected	_Z6affinePKtPt          ; -- Begin function _Z6affinePKtPt
	.globl	_Z6affinePKtPt
	.p2align	8
	.type	_Z6affinePKtPt,@function
_Z6affinePKtPt:                         ; @_Z6affinePKtPt
; %bb.0:
	s_load_dword s0, s[4:5], 0x1c
	s_load_dwordx2 s[2:3], s[4:5], 0x0
	s_waitcnt lgkmcnt(0)
	s_lshr_b32 s1, s0, 16
	s_and_b32 s0, s0, 0xffff
	s_mul_i32 s6, s6, s0
	v_add_u32_e32 v0, s6, v0
	s_mul_i32 s7, s7, s1
	v_cvt_f32_i32_e32 v2, v0
	v_add_u32_e32 v1, s7, v1
	v_cvt_f32_i32_e32 v3, v1
	s_mov_b32 s0, 0x4013cd3a
	v_add_f32_e32 v4, 0xc3800000, v2
	v_fma_f32 v2, v4, s0, 0
	v_add_f32_e32 v3, 0xc3800000, v3
	v_fmac_f32_e32 v2, 0x80000000, v3
	s_mov_b32 s0, 0xbf93cd3a
	v_add_f32_e32 v2, 0x43800000, v2
	v_fma_f32 v5, v4, s0, 0
	v_fmac_f32_e32 v5, 2.0, v3
	v_floor_f32_e32 v3, v2
	v_cvt_i32_f32_e32 v4, v3
	v_add_f32_e32 v3, 0x43800000, v5
	v_floor_f32_e32 v5, v3
	v_cvt_i32_f32_e32 v5, v5
	v_cmp_gt_i32_e64 s[0:1], 0, v4
	v_cmp_lt_i32_e32 vcc, -1, v4
	s_mov_b64 s[6:7], 0
	s_and_saveexec_b64 s[8:9], vcc
; %bb.1:
	v_max_u32_e32 v6, v4, v5
	s_movk_i32 s10, 0x1fe
	v_cmp_lt_u32_e32 vcc, s10, v6
	s_andn2_b64 s[0:1], s[0:1], exec
	s_and_b64 s[10:11], vcc, exec
	s_mov_b64 s[6:7], exec
	s_or_b64 s[0:1], s[0:1], s[10:11]
; %bb.2:
	s_or_b64 exec, exec, s[8:9]
	s_load_dwordx2 s[4:5], s[4:5], 0x8
                                        ; implicit-def: $vgpr6
	s_and_saveexec_b64 s[8:9], s[0:1]
	s_xor_b64 s[8:9], exec, s[8:9]
	s_cbranch_execz .LBB0_8
; %bb.3:
	s_movk_i32 s14, 0x1ff
	s_movk_i32 s15, 0x200
	v_cmp_eq_u32_e32 vcc, s14, v4
	v_cmp_gt_u32_e64 s[0:1], s15, v5
	s_and_b64 s[10:11], vcc, s[0:1]
	s_xor_b64 s[0:1], s[10:11], -1
	s_and_saveexec_b64 s[12:13], s[0:1]
; %bb.4:
	v_cmp_eq_u32_e32 vcc, s14, v5
	v_cmp_gt_u32_e64 s[0:1], s15, v4
	s_and_b64 s[0:1], vcc, s[0:1]
	s_andn2_b64 s[10:11], s[10:11], exec
	s_and_b64 s[0:1], s[0:1], exec
	s_or_b64 s[10:11], s[10:11], s[0:1]
; %bb.5:
	s_or_b64 exec, exec, s[12:13]
	v_mov_b32_e32 v6, 1
	s_and_saveexec_b64 s[0:1], s[10:11]
	s_cbranch_execz .LBB0_7
; %bb.6:
	v_lshl_add_u32 v6, v5, 9, v4
	v_mov_b32_e32 v7, 0
	v_lshlrev_b64 v[6:7], 1, v[6:7]
	v_mov_b32_e32 v8, s3
	v_add_co_u32_e32 v6, vcc, s2, v6
	v_addc_co_u32_e32 v7, vcc, v8, v7, vcc
	global_load_ushort v6, v[6:7], off
.LBB0_7:
	s_or_b64 exec, exec, s[0:1]
	s_andn2_b64 s[6:7], s[6:7], exec
.LBB0_8:
	s_or_b64 exec, exec, s[8:9]
	s_and_saveexec_b64 s[0:1], s[6:7]
	s_cbranch_execz .LBB0_10
; %bb.9:
	v_lshlrev_b32_e32 v10, 9, v5
	s_waitcnt vmcnt(0)
	v_or_b32_e32 v6, v10, v4
	v_mov_b32_e32 v7, 0
	v_lshlrev_b64 v[8:9], 1, v[6:7]
	v_mov_b32_e32 v6, s3
	v_add_co_u32_e32 v8, vcc, s2, v8
	v_addc_co_u32_e32 v9, vcc, v6, v9, vcc
	v_add_u32_e32 v6, v10, v4
	v_lshlrev_b64 v[6:7], 1, v[6:7]
	v_mov_b32_e32 v10, s3
	v_add_co_u32_e32 v6, vcc, s2, v6
	v_addc_co_u32_e32 v7, vcc, v10, v7, vcc
	global_load_dword v10, v[8:9], off
	global_load_dword v11, v[6:7], off offset:1024
	v_cvt_f32_i32_e32 v4, v4
	v_cvt_f32_i32_e32 v5, v5
	v_sub_f32_e32 v2, v2, v4
	v_sub_f32_e32 v3, v3, v5
	v_sub_f32_e32 v5, 1.0, v2
	v_sub_f32_e32 v4, 1.0, v3
	s_waitcnt vmcnt(1)
	v_cvt_f32_u32_sdwa v6, v10 dst_sel:DWORD dst_unused:UNUSED_PAD src0_sel:WORD_1
	s_waitcnt vmcnt(0)
	v_cvt_f32_u32_sdwa v7, v11 dst_sel:DWORD dst_unused:UNUSED_PAD src0_sel:WORD_1
	v_cvt_f32_u32_sdwa v9, v11 dst_sel:DWORD dst_unused:UNUSED_PAD src0_sel:WORD_0
	v_cvt_f32_u32_sdwa v8, v10 dst_sel:DWORD dst_unused:UNUSED_PAD src0_sel:WORD_0
	v_mul_f32_e32 v6, v2, v6
	v_mul_f32_e32 v2, v2, v7
	v_fmac_f32_e32 v2, v5, v9
	v_fmac_f32_e32 v6, v5, v8
	v_mul_f32_e32 v2, v3, v2
	v_fmac_f32_e32 v2, v4, v6
	v_cvt_u32_f32_e32 v6, v2
.LBB0_10:
	s_or_b64 exec, exec, s[0:1]
	v_lshl_add_u32 v0, v1, 9, v0
	v_ashrrev_i32_e32 v1, 31, v0
	v_lshlrev_b64 v[0:1], 1, v[0:1]
	s_waitcnt lgkmcnt(0)
	v_mov_b32_e32 v2, s5
	v_add_co_u32_e32 v0, vcc, s4, v0
	v_addc_co_u32_e32 v1, vcc, v2, v1, vcc
	s_waitcnt vmcnt(0)
	global_store_short v[0:1], v6, off
	s_endpgm
	.section	.rodata,"a",@progbits
	.p2align	6, 0x0
	.amdhsa_kernel _Z6affinePKtPt
		.amdhsa_group_segment_fixed_size 0
		.amdhsa_private_segment_fixed_size 0
		.amdhsa_kernarg_size 272
		.amdhsa_user_sgpr_count 6
		.amdhsa_user_sgpr_private_segment_buffer 1
		.amdhsa_user_sgpr_dispatch_ptr 0
		.amdhsa_user_sgpr_queue_ptr 0
		.amdhsa_user_sgpr_kernarg_segment_ptr 1
		.amdhsa_user_sgpr_dispatch_id 0
		.amdhsa_user_sgpr_flat_scratch_init 0
		.amdhsa_user_sgpr_private_segment_size 0
		.amdhsa_uses_dynamic_stack 0
		.amdhsa_system_sgpr_private_segment_wavefront_offset 0
		.amdhsa_system_sgpr_workgroup_id_x 1
		.amdhsa_system_sgpr_workgroup_id_y 1
		.amdhsa_system_sgpr_workgroup_id_z 0
		.amdhsa_system_sgpr_workgroup_info 0
		.amdhsa_system_vgpr_workitem_id 1
		.amdhsa_next_free_vgpr 12
		.amdhsa_next_free_sgpr 16
		.amdhsa_reserve_vcc 1
		.amdhsa_reserve_flat_scratch 0
		.amdhsa_float_round_mode_32 0
		.amdhsa_float_round_mode_16_64 0
		.amdhsa_float_denorm_mode_32 3
		.amdhsa_float_denorm_mode_16_64 3
		.amdhsa_dx10_clamp 1
		.amdhsa_ieee_mode 1
		.amdhsa_fp16_overflow 0
		.amdhsa_exception_fp_ieee_invalid_op 0
		.amdhsa_exception_fp_denorm_src 0
		.amdhsa_exception_fp_ieee_div_zero 0
		.amdhsa_exception_fp_ieee_overflow 0
		.amdhsa_exception_fp_ieee_underflow 0
		.amdhsa_exception_fp_ieee_inexact 0
		.amdhsa_exception_int_div_zero 0
	.end_amdhsa_kernel
	.text
.Lfunc_end0:
	.size	_Z6affinePKtPt, .Lfunc_end0-_Z6affinePKtPt
                                        ; -- End function
	.set _Z6affinePKtPt.num_vgpr, 12
	.set _Z6affinePKtPt.num_agpr, 0
	.set _Z6affinePKtPt.numbered_sgpr, 16
	.set _Z6affinePKtPt.num_named_barrier, 0
	.set _Z6affinePKtPt.private_seg_size, 0
	.set _Z6affinePKtPt.uses_vcc, 1
	.set _Z6affinePKtPt.uses_flat_scratch, 0
	.set _Z6affinePKtPt.has_dyn_sized_stack, 0
	.set _Z6affinePKtPt.has_recursion, 0
	.set _Z6affinePKtPt.has_indirect_call, 0
	.section	.AMDGPU.csdata,"",@progbits
; Kernel info:
; codeLenInByte = 580
; TotalNumSgprs: 20
; NumVgprs: 12
; ScratchSize: 0
; MemoryBound: 0
; FloatMode: 240
; IeeeMode: 1
; LDSByteSize: 0 bytes/workgroup (compile time only)
; SGPRBlocks: 2
; VGPRBlocks: 2
; NumSGPRsForWavesPerEU: 20
; NumVGPRsForWavesPerEU: 12
; Occupancy: 10
; WaveLimiterHint : 0
; COMPUTE_PGM_RSRC2:SCRATCH_EN: 0
; COMPUTE_PGM_RSRC2:USER_SGPR: 6
; COMPUTE_PGM_RSRC2:TRAP_HANDLER: 0
; COMPUTE_PGM_RSRC2:TGID_X_EN: 1
; COMPUTE_PGM_RSRC2:TGID_Y_EN: 1
; COMPUTE_PGM_RSRC2:TGID_Z_EN: 0
; COMPUTE_PGM_RSRC2:TIDIG_COMP_CNT: 1
	.section	.AMDGPU.gpr_maximums,"",@progbits
	.set amdgpu.max_num_vgpr, 0
	.set amdgpu.max_num_agpr, 0
	.set amdgpu.max_num_sgpr, 0
	.section	.AMDGPU.csdata,"",@progbits
	.type	__hip_cuid_a9f0bbb56eac5378,@object ; @__hip_cuid_a9f0bbb56eac5378
	.section	.bss,"aw",@nobits
	.globl	__hip_cuid_a9f0bbb56eac5378
__hip_cuid_a9f0bbb56eac5378:
	.byte	0                               ; 0x0
	.size	__hip_cuid_a9f0bbb56eac5378, 1

	.ident	"AMD clang version 22.0.0git (https://github.com/RadeonOpenCompute/llvm-project roc-7.2.4 26084 f58b06dce1f9c15707c5f808fd002e18c2accf7e)"
	.section	".note.GNU-stack","",@progbits
	.addrsig
	.addrsig_sym __hip_cuid_a9f0bbb56eac5378
	.amdgpu_metadata
---
amdhsa.kernels:
  - .args:
      - .actual_access:  read_only
        .address_space:  global
        .offset:         0
        .size:           8
        .value_kind:     global_buffer
      - .actual_access:  write_only
        .address_space:  global
        .offset:         8
        .size:           8
        .value_kind:     global_buffer
      - .offset:         16
        .size:           4
        .value_kind:     hidden_block_count_x
      - .offset:         20
        .size:           4
        .value_kind:     hidden_block_count_y
      - .offset:         24
        .size:           4
        .value_kind:     hidden_block_count_z
      - .offset:         28
        .size:           2
        .value_kind:     hidden_group_size_x
      - .offset:         30
        .size:           2
        .value_kind:     hidden_group_size_y
      - .offset:         32
        .size:           2
        .value_kind:     hidden_group_size_z
      - .offset:         34
        .size:           2
        .value_kind:     hidden_remainder_x
      - .offset:         36
        .size:           2
        .value_kind:     hidden_remainder_y
      - .offset:         38
        .size:           2
        .value_kind:     hidden_remainder_z
      - .offset:         56
        .size:           8
        .value_kind:     hidden_global_offset_x
      - .offset:         64
        .size:           8
        .value_kind:     hidden_global_offset_y
      - .offset:         72
        .size:           8
        .value_kind:     hidden_global_offset_z
      - .offset:         80
        .size:           2
        .value_kind:     hidden_grid_dims
    .group_segment_fixed_size: 0
    .kernarg_segment_align: 8
    .kernarg_segment_size: 272
    .language:       OpenCL C
    .language_version:
      - 2
      - 0
    .max_flat_workgroup_size: 1024
    .name:           _Z6affinePKtPt
    .private_segment_fixed_size: 0
    .sgpr_count:     20
    .sgpr_spill_count: 0
    .symbol:         _Z6affinePKtPt.kd
    .uniform_work_group_size: 1
    .uses_dynamic_stack: false
    .vgpr_count:     12
    .vgpr_spill_count: 0
    .wavefront_size: 64
amdhsa.target:   amdgcn-amd-amdhsa--gfx906
amdhsa.version:
  - 1
  - 2
...

	.end_amdgpu_metadata
